;; amdgpu-corpus repo=ROCm/rocFFT kind=compiled arch=gfx90a opt=O3
	.text
	.amdgcn_target "amdgcn-amd-amdhsa--gfx90a"
	.amdhsa_code_object_version 6
	.protected	fft_rtc_back_len121_factors_11_11_wgs_121_tpt_11_dp_op_CI_CI_sbcc_twdbase8_3step_dirReg_intrinsicReadWrite ; -- Begin function fft_rtc_back_len121_factors_11_11_wgs_121_tpt_11_dp_op_CI_CI_sbcc_twdbase8_3step_dirReg_intrinsicReadWrite
	.globl	fft_rtc_back_len121_factors_11_11_wgs_121_tpt_11_dp_op_CI_CI_sbcc_twdbase8_3step_dirReg_intrinsicReadWrite
	.p2align	8
	.type	fft_rtc_back_len121_factors_11_11_wgs_121_tpt_11_dp_op_CI_CI_sbcc_twdbase8_3step_dirReg_intrinsicReadWrite,@function
fft_rtc_back_len121_factors_11_11_wgs_121_tpt_11_dp_op_CI_CI_sbcc_twdbase8_3step_dirReg_intrinsicReadWrite: ; @fft_rtc_back_len121_factors_11_11_wgs_121_tpt_11_dp_op_CI_CI_sbcc_twdbase8_3step_dirReg_intrinsicReadWrite
; %bb.0:
	s_load_dwordx4 s[0:3], s[4:5], 0x18
	s_load_dwordx2 s[26:27], s[4:5], 0x28
	s_mov_b32 s7, 0
	s_mov_b64 s[30:31], 0
	s_waitcnt lgkmcnt(0)
	s_load_dwordx2 s[24:25], s[0:1], 0x8
	s_waitcnt lgkmcnt(0)
	s_add_u32 s8, s24, -1
	s_addc_u32 s9, s25, -1
	s_add_u32 s10, 0, 0x5d161400
	s_addc_u32 s11, 0, 0x54
	s_mul_hi_u32 s13, s10, -11
	s_add_i32 s11, s11, 0x1745d120
	s_sub_i32 s13, s13, s10
	s_mul_i32 s16, s11, -11
	s_mul_i32 s12, s10, -11
	s_add_i32 s13, s13, s16
	s_mul_hi_u32 s14, s11, s12
	s_mul_i32 s15, s11, s12
	s_mul_i32 s17, s10, s13
	s_mul_hi_u32 s12, s10, s12
	s_mul_hi_u32 s16, s10, s13
	s_add_u32 s12, s12, s17
	s_addc_u32 s16, 0, s16
	s_add_u32 s12, s12, s15
	s_mul_hi_u32 s17, s11, s13
	s_addc_u32 s12, s16, s14
	s_addc_u32 s14, s17, 0
	s_mul_i32 s13, s11, s13
	s_add_u32 s12, s12, s13
	v_mov_b32_e32 v1, s12
	s_addc_u32 s13, 0, s14
	v_add_co_u32_e32 v1, vcc, s10, v1
	s_cmp_lg_u64 vcc, 0
	s_addc_u32 s10, s11, s13
	v_readfirstlane_b32 s13, v1
	s_mul_i32 s12, s8, s10
	s_mul_hi_u32 s14, s8, s13
	s_mul_hi_u32 s11, s8, s10
	s_add_u32 s12, s14, s12
	s_addc_u32 s11, 0, s11
	s_mul_hi_u32 s15, s9, s13
	s_mul_i32 s13, s9, s13
	s_add_u32 s12, s12, s13
	s_mul_hi_u32 s14, s9, s10
	s_addc_u32 s11, s11, s15
	s_addc_u32 s12, s14, 0
	s_mul_i32 s10, s9, s10
	s_add_u32 s10, s11, s10
	s_addc_u32 s11, 0, s12
	s_add_u32 s12, s10, 1
	s_addc_u32 s13, s11, 0
	s_add_u32 s14, s10, 2
	s_mul_i32 s16, s11, 11
	s_mul_hi_u32 s17, s10, 11
	s_addc_u32 s15, s11, 0
	s_add_i32 s17, s17, s16
	s_mul_i32 s16, s10, 11
	v_mov_b32_e32 v1, s16
	v_sub_co_u32_e32 v1, vcc, s8, v1
	s_cmp_lg_u64 vcc, 0
	s_subb_u32 s8, s9, s17
	v_subrev_co_u32_e32 v2, vcc, 11, v1
	s_cmp_lg_u64 vcc, 0
	s_subb_u32 s9, s8, 0
	v_readfirstlane_b32 s16, v2
	s_cmp_gt_u32 s16, 10
	s_cselect_b32 s16, -1, 0
	s_cmp_eq_u32 s9, 0
	s_cselect_b32 s9, s16, -1
	s_cmp_lg_u32 s9, 0
	s_cselect_b32 s9, s14, s12
	s_cselect_b32 s12, s15, s13
	v_readfirstlane_b32 s13, v1
	s_cmp_gt_u32 s13, 10
	s_cselect_b32 s13, -1, 0
	s_cmp_eq_u32 s8, 0
	s_cselect_b32 s8, s13, -1
	s_cmp_lg_u32 s8, 0
	s_cselect_b32 s9, s9, s10
	s_cselect_b32 s8, s12, s11
	s_add_u32 s28, s9, 1
	s_addc_u32 s29, s8, 0
	v_pk_mov_b32 v[2:3], s[28:29], s[28:29] op_sel:[0,1]
	v_cmp_lt_u64_e32 vcc, s[6:7], v[2:3]
	s_cbranch_vccnz .LBB0_2
; %bb.1:
	v_cvt_f32_u32_e32 v1, s28
	s_sub_i32 s8, 0, s28
	s_mov_b32 s31, s7
	v_rcp_iflag_f32_e32 v1, v1
	v_mul_f32_e32 v1, 0x4f7ffffe, v1
	v_cvt_u32_f32_e32 v1, v1
	v_readfirstlane_b32 s9, v1
	s_mul_i32 s8, s8, s9
	s_mul_hi_u32 s8, s9, s8
	s_add_i32 s9, s9, s8
	s_mul_hi_u32 s8, s6, s9
	s_mul_i32 s10, s8, s28
	s_sub_i32 s10, s6, s10
	s_add_i32 s9, s8, 1
	s_sub_i32 s11, s10, s28
	s_cmp_ge_u32 s10, s28
	s_cselect_b32 s8, s9, s8
	s_cselect_b32 s10, s11, s10
	s_add_i32 s9, s8, 1
	s_cmp_ge_u32 s10, s28
	s_cselect_b32 s30, s9, s8
.LBB0_2:
	s_load_dwordx4 s[12:15], s[4:5], 0x60
	s_load_dwordx4 s[20:23], s[2:3], 0x0
	;; [unrolled: 1-line block ×3, first 2 shown]
	s_load_dwordx2 s[42:43], s[4:5], 0x0
	s_load_dwordx4 s[16:19], s[4:5], 0x8
	s_mul_i32 s4, s30, s29
	s_mul_hi_u32 s5, s30, s28
	s_add_i32 s5, s5, s4
	s_mul_i32 s4, s30, s28
	s_sub_u32 s33, s6, s4
	s_subb_u32 s4, 0, s5
	s_mul_i32 s4, s4, 11
	s_waitcnt lgkmcnt(0)
	s_mul_hi_u32 s21, s33, 11
	s_add_i32 s21, s21, s4
	s_mul_i32 s33, s33, 11
	s_mul_i32 s4, s22, s21
	s_mul_hi_u32 s5, s22, s33
	s_add_i32 s4, s5, s4
	s_mul_i32 s5, s23, s33
	s_add_i32 s48, s4, s5
	s_mul_i32 s4, s10, s21
	s_mul_hi_u32 s5, s10, s33
	s_add_i32 s4, s5, s4
	s_mul_i32 s5, s11, s33
	s_add_i32 s11, s4, s5
	v_cmp_lt_u64_e64 s[4:5], s[18:19], 3
	s_mul_i32 s23, s22, s33
	s_mul_i32 s9, s10, s33
	s_and_b64 vcc, exec, s[4:5]
	s_cbranch_vccnz .LBB0_12
; %bb.3:
	s_add_u32 s4, s26, 16
	s_addc_u32 s5, s27, 0
	s_add_u32 s34, s2, 16
	s_addc_u32 s35, s3, 0
	;; [unrolled: 2-line block ×3, first 2 shown]
	s_mov_b64 s[38:39], 2
	s_mov_b32 s40, 0
	v_pk_mov_b32 v[2:3], s[18:19], s[18:19] op_sel:[0,1]
.LBB0_4:                                ; =>This Inner Loop Header: Depth=1
	s_load_dwordx2 s[44:45], s[36:37], 0x0
	s_waitcnt lgkmcnt(0)
	s_or_b64 s[0:1], s[30:31], s[44:45]
	s_mov_b32 s41, s1
	s_cmp_lg_u64 s[40:41], 0
	s_cbranch_scc0 .LBB0_9
; %bb.5:                                ;   in Loop: Header=BB0_4 Depth=1
	v_cvt_f32_u32_e32 v1, s44
	v_cvt_f32_u32_e32 v4, s45
	s_sub_u32 s0, 0, s44
	s_subb_u32 s1, 0, s45
	v_mac_f32_e32 v1, 0x4f800000, v4
	v_rcp_f32_e32 v1, v1
	v_mul_f32_e32 v1, 0x5f7ffffc, v1
	v_mul_f32_e32 v4, 0x2f800000, v1
	v_trunc_f32_e32 v4, v4
	v_mac_f32_e32 v1, 0xcf800000, v4
	v_cvt_u32_f32_e32 v4, v4
	v_cvt_u32_f32_e32 v1, v1
	v_readfirstlane_b32 s41, v4
	v_readfirstlane_b32 s46, v1
	s_mul_i32 s47, s0, s41
	s_mul_hi_u32 s50, s0, s46
	s_mul_i32 s49, s1, s46
	s_add_i32 s47, s50, s47
	s_mul_i32 s51, s0, s46
	s_add_i32 s47, s47, s49
	s_mul_hi_u32 s49, s46, s47
	s_mul_i32 s50, s46, s47
	s_mul_hi_u32 s46, s46, s51
	s_add_u32 s46, s46, s50
	s_addc_u32 s49, 0, s49
	s_mul_hi_u32 s52, s41, s51
	s_mul_i32 s51, s41, s51
	s_add_u32 s46, s46, s51
	s_mul_hi_u32 s50, s41, s47
	s_addc_u32 s46, s49, s52
	s_addc_u32 s49, s50, 0
	s_mul_i32 s47, s41, s47
	s_add_u32 s46, s46, s47
	s_addc_u32 s47, 0, s49
	v_add_co_u32_e32 v1, vcc, s46, v1
	s_cmp_lg_u64 vcc, 0
	s_addc_u32 s41, s41, s47
	v_readfirstlane_b32 s47, v1
	s_mul_i32 s46, s0, s41
	s_mul_hi_u32 s49, s0, s47
	s_add_i32 s46, s49, s46
	s_mul_i32 s1, s1, s47
	s_add_i32 s46, s46, s1
	s_mul_i32 s0, s0, s47
	s_mul_hi_u32 s49, s41, s0
	s_mul_i32 s50, s41, s0
	s_mul_i32 s52, s47, s46
	s_mul_hi_u32 s0, s47, s0
	s_mul_hi_u32 s51, s47, s46
	s_add_u32 s0, s0, s52
	s_addc_u32 s47, 0, s51
	s_add_u32 s0, s0, s50
	s_mul_hi_u32 s1, s41, s46
	s_addc_u32 s0, s47, s49
	s_addc_u32 s1, s1, 0
	s_mul_i32 s46, s41, s46
	s_add_u32 s0, s0, s46
	s_addc_u32 s1, 0, s1
	v_add_co_u32_e32 v1, vcc, s0, v1
	s_cmp_lg_u64 vcc, 0
	s_addc_u32 s0, s41, s1
	v_readfirstlane_b32 s46, v1
	s_mul_i32 s41, s30, s0
	s_mul_hi_u32 s47, s30, s46
	s_mul_hi_u32 s1, s30, s0
	s_add_u32 s41, s47, s41
	s_addc_u32 s1, 0, s1
	s_mul_hi_u32 s49, s31, s46
	s_mul_i32 s46, s31, s46
	s_add_u32 s41, s41, s46
	s_mul_hi_u32 s47, s31, s0
	s_addc_u32 s1, s1, s49
	s_addc_u32 s41, s47, 0
	s_mul_i32 s0, s31, s0
	s_add_u32 s46, s1, s0
	s_addc_u32 s41, 0, s41
	s_mul_i32 s0, s44, s41
	s_mul_hi_u32 s1, s44, s46
	s_add_i32 s0, s1, s0
	s_mul_i32 s1, s45, s46
	s_add_i32 s47, s0, s1
	s_mul_i32 s1, s44, s46
	v_mov_b32_e32 v1, s1
	s_sub_i32 s0, s31, s47
	v_sub_co_u32_e32 v1, vcc, s30, v1
	s_cmp_lg_u64 vcc, 0
	s_subb_u32 s49, s0, s45
	v_subrev_co_u32_e64 v4, s[0:1], s44, v1
	s_cmp_lg_u64 s[0:1], 0
	s_subb_u32 s0, s49, 0
	s_cmp_ge_u32 s0, s45
	v_readfirstlane_b32 s49, v4
	s_cselect_b32 s1, -1, 0
	s_cmp_ge_u32 s49, s44
	s_cselect_b32 s49, -1, 0
	s_cmp_eq_u32 s0, s45
	s_cselect_b32 s0, s49, s1
	s_add_u32 s1, s46, 1
	s_addc_u32 s49, s41, 0
	s_add_u32 s50, s46, 2
	s_addc_u32 s51, s41, 0
	s_cmp_lg_u32 s0, 0
	s_cselect_b32 s0, s50, s1
	s_cselect_b32 s1, s51, s49
	s_cmp_lg_u64 vcc, 0
	s_subb_u32 s47, s31, s47
	s_cmp_ge_u32 s47, s45
	v_readfirstlane_b32 s50, v1
	s_cselect_b32 s49, -1, 0
	s_cmp_ge_u32 s50, s44
	s_cselect_b32 s50, -1, 0
	s_cmp_eq_u32 s47, s45
	s_cselect_b32 s47, s50, s49
	s_cmp_lg_u32 s47, 0
	s_cselect_b32 s1, s1, s41
	s_cselect_b32 s0, s0, s46
	s_cbranch_execnz .LBB0_7
.LBB0_6:                                ;   in Loop: Header=BB0_4 Depth=1
	v_cvt_f32_u32_e32 v1, s44
	s_sub_i32 s0, 0, s44
	v_rcp_iflag_f32_e32 v1, v1
	v_mul_f32_e32 v1, 0x4f7ffffe, v1
	v_cvt_u32_f32_e32 v1, v1
	v_readfirstlane_b32 s1, v1
	s_mul_i32 s0, s0, s1
	s_mul_hi_u32 s0, s1, s0
	s_add_i32 s1, s1, s0
	s_mul_hi_u32 s0, s30, s1
	s_mul_i32 s41, s0, s44
	s_sub_i32 s41, s30, s41
	s_add_i32 s1, s0, 1
	s_sub_i32 s46, s41, s44
	s_cmp_ge_u32 s41, s44
	s_cselect_b32 s0, s1, s0
	s_cselect_b32 s41, s46, s41
	s_add_i32 s1, s0, 1
	s_cmp_ge_u32 s41, s44
	s_cselect_b32 s0, s1, s0
	s_mov_b32 s1, s40
.LBB0_7:                                ;   in Loop: Header=BB0_4 Depth=1
	s_mul_i32 s29, s44, s29
	s_mul_hi_u32 s41, s44, s28
	s_add_i32 s29, s41, s29
	s_mul_i32 s41, s45, s28
	s_add_i32 s29, s29, s41
	s_mul_i32 s41, s0, s45
	s_mul_hi_u32 s45, s0, s44
	s_load_dwordx2 s[46:47], s[34:35], 0x0
	s_add_i32 s41, s45, s41
	s_mul_i32 s45, s1, s44
	s_mul_i32 s28, s44, s28
	s_add_i32 s41, s41, s45
	s_mul_i32 s44, s0, s44
	s_sub_u32 s44, s30, s44
	s_subb_u32 s41, s31, s41
	s_waitcnt lgkmcnt(0)
	s_mul_i32 s30, s46, s41
	s_mul_hi_u32 s31, s46, s44
	s_add_i32 s45, s31, s30
	s_load_dwordx2 s[30:31], s[4:5], 0x0
	s_mul_i32 s47, s47, s44
	s_add_i32 s45, s45, s47
	s_mul_i32 s46, s46, s44
	s_add_u32 s23, s46, s23
	s_addc_u32 s48, s45, s48
	s_waitcnt lgkmcnt(0)
	s_mul_i32 s41, s30, s41
	s_mul_hi_u32 s45, s30, s44
	s_add_i32 s41, s45, s41
	s_mul_i32 s31, s31, s44
	s_add_i32 s41, s41, s31
	s_mul_i32 s30, s30, s44
	s_add_u32 s9, s30, s9
	s_addc_u32 s11, s41, s11
	s_add_u32 s38, s38, 1
	s_addc_u32 s39, s39, 0
	;; [unrolled: 2-line block ×4, first 2 shown]
	s_add_u32 s36, s36, 8
	v_cmp_ge_u64_e32 vcc, s[38:39], v[2:3]
	s_addc_u32 s37, s37, 0
	s_cbranch_vccnz .LBB0_10
; %bb.8:                                ;   in Loop: Header=BB0_4 Depth=1
	s_mov_b64 s[30:31], s[0:1]
	s_branch .LBB0_4
.LBB0_9:                                ;   in Loop: Header=BB0_4 Depth=1
                                        ; implicit-def: $sgpr0_sgpr1
	s_branch .LBB0_6
.LBB0_10:
	v_pk_mov_b32 v[2:3], s[28:29], s[28:29] op_sel:[0,1]
	v_cmp_lt_u64_e32 vcc, s[6:7], v[2:3]
	s_mov_b64 s[30:31], 0
	s_cbranch_vccnz .LBB0_12
; %bb.11:
	v_cvt_f32_u32_e32 v1, s28
	s_sub_i32 s0, 0, s28
	v_rcp_iflag_f32_e32 v1, v1
	v_mul_f32_e32 v1, 0x4f7ffffe, v1
	v_cvt_u32_f32_e32 v1, v1
	v_readfirstlane_b32 s1, v1
	s_mul_i32 s0, s0, s1
	s_mul_hi_u32 s0, s1, s0
	s_add_i32 s1, s1, s0
	s_mul_hi_u32 s0, s6, s1
	s_mul_i32 s4, s0, s28
	s_sub_i32 s4, s6, s4
	s_add_i32 s1, s0, 1
	s_sub_i32 s5, s4, s28
	s_cmp_ge_u32 s4, s28
	s_cselect_b32 s0, s1, s0
	s_cselect_b32 s4, s5, s4
	s_add_i32 s1, s0, 1
	s_cmp_ge_u32 s4, s28
	s_cselect_b32 s30, s1, s0
.LBB0_12:
	s_lshl_b64 s[0:1], s[18:19], 3
	s_add_u32 s2, s2, s0
	s_addc_u32 s3, s3, s1
	s_load_dword s2, s[2:3], 0x0
	v_mul_u32_u24_e32 v1, 0x1746, v0
	v_lshrrev_b32_e32 v66, 16, v1
	v_mul_lo_u16_e32 v1, 11, v66
	v_sub_u16_e32 v1, v0, v1
	s_waitcnt lgkmcnt(0)
	s_mul_i32 s2, s2, s30
	s_add_i32 s2, s2, s23
	s_add_u32 s0, s26, s0
	s_addc_u32 s1, s27, s1
	s_load_dword s0, s[0:1], 0x0
	v_mov_b32_e32 v2, s21
	v_add_co_u32_e32 v56, vcc, s33, v1
	v_addc_co_u32_e32 v57, vcc, 0, v2, vcc
	s_waitcnt lgkmcnt(0)
	s_mul_i32 s0, s0, s30
	s_add_i32 s9, s0, s9
	s_add_u32 s0, s33, 11
	s_addc_u32 s1, s21, 0
	v_pk_mov_b32 v[2:3], s[24:25], s[24:25] op_sel:[0,1]
	v_cmp_le_u64_e32 vcc, s[0:1], v[2:3]
	v_mul_lo_u32 v26, s22, v1
	v_mul_lo_u32 v2, s20, v66
	v_cmp_gt_u64_e64 s[0:1], s[24:25], v[56:57]
	v_add_lshl_u32 v2, v26, v2, 4
	s_or_b64 vcc, vcc, s[0:1]
	v_cndmask_b32_e32 v6, -1, v2, vcc
	v_add_u32_e32 v2, 11, v66
	v_mul_lo_u32 v2, s20, v2
	s_lshl_b32 s4, s2, 4
	s_mov_b32 s3, 0x20000
	s_mov_b32 s2, -2
	s_mov_b32 s0, s12
	s_mov_b32 s1, s13
	v_add_lshl_u32 v2, v26, v2, 4
	v_cndmask_b32_e32 v7, -1, v2, vcc
	buffer_load_dwordx4 v[34:37], v6, s[0:3], s4 offen
	buffer_load_dwordx4 v[2:5], v7, s[0:3], s4 offen
	v_add_u32_e32 v6, 22, v66
	v_mul_lo_u32 v6, s20, v6
	v_add_u32_e32 v7, 33, v66
	v_add_lshl_u32 v6, v26, v6, 4
	v_mul_lo_u32 v7, s20, v7
	v_cndmask_b32_e32 v6, -1, v6, vcc
	v_add_lshl_u32 v7, v26, v7, 4
	v_cndmask_b32_e32 v7, -1, v7, vcc
	buffer_load_dwordx4 v[30:33], v6, s[0:3], s4 offen
	buffer_load_dwordx4 v[22:25], v7, s[0:3], s4 offen
	v_add_u32_e32 v6, 44, v66
	v_mul_lo_u32 v6, s20, v6
	v_add_lshl_u32 v6, v26, v6, 4
	v_cndmask_b32_e32 v10, -1, v6, vcc
	v_add_u32_e32 v6, 55, v66
	v_mul_lo_u32 v6, s20, v6
	v_add_lshl_u32 v6, v26, v6, 4
	v_cndmask_b32_e32 v11, -1, v6, vcc
	buffer_load_dwordx4 v[14:17], v10, s[0:3], s4 offen
	buffer_load_dwordx4 v[6:9], v11, s[0:3], s4 offen
	v_add_u32_e32 v10, 0x42, v66
	v_add_u32_e32 v11, 0x6e, v66
	v_mul_lo_u32 v11, s20, v11
	v_mul_lo_u32 v10, s20, v10
	v_add_lshl_u32 v11, v26, v11, 4
	v_add_lshl_u32 v10, v26, v10, 4
	v_cndmask_b32_e32 v11, -1, v11, vcc
	v_cndmask_b32_e32 v27, -1, v10, vcc
	v_add_u32_e32 v10, 0x4d, v66
	buffer_load_dwordx4 v[42:45], v11, s[0:3], s4 offen
	v_mul_lo_u32 v10, s20, v10
	v_add_lshl_u32 v10, v26, v10, 4
	v_cndmask_b32_e32 v28, -1, v10, vcc
	buffer_load_dwordx4 v[10:13], v27, s[0:3], s4 offen
	buffer_load_dwordx4 v[18:21], v28, s[0:3], s4 offen
	v_add_u32_e32 v27, 0x58, v66
	v_mul_lo_u32 v27, s20, v27
	v_add_u32_e32 v28, 0x63, v66
	v_add_lshl_u32 v27, v26, v27, 4
	v_mul_lo_u32 v28, s20, v28
	v_cndmask_b32_e32 v27, -1, v27, vcc
	v_add_lshl_u32 v38, v26, v28, 4
	buffer_load_dwordx4 v[26:29], v27, s[0:3], s4 offen
	v_cndmask_b32_e32 v38, -1, v38, vcc
	buffer_load_dwordx4 v[38:41], v38, s[0:3], s4 offen
	s_mov_b32 s18, 0x8764f0ba
	s_mov_b32 s24, 0xd9c712b6
	;; [unrolled: 1-line block ×30, first 2 shown]
	s_movk_i32 s11, 0xf920
	v_mov_b32_e32 v91, 0x2000
	s_waitcnt vmcnt(9)
	v_add_f64 v[48:49], v[36:37], v[4:5]
	v_add_f64 v[46:47], v[34:35], v[2:3]
	s_waitcnt vmcnt(4)
	v_add_f64 v[58:59], v[4:5], v[44:45]
	v_add_f64 v[62:63], v[4:5], -v[44:45]
	v_add_f64 v[4:5], v[48:49], v[32:33]
	v_add_f64 v[54:55], v[2:3], v[42:43]
	v_add_f64 v[60:61], v[2:3], -v[42:43]
	v_add_f64 v[2:3], v[46:47], v[30:31]
	v_add_f64 v[4:5], v[4:5], v[24:25]
	;; [unrolled: 1-line block ×7, first 2 shown]
	s_waitcnt vmcnt(3)
	v_add_f64 v[4:5], v[4:5], v[12:13]
	v_add_f64 v[2:3], v[2:3], v[10:11]
	s_waitcnt vmcnt(2)
	v_add_f64 v[4:5], v[4:5], v[20:21]
	v_add_f64 v[2:3], v[2:3], v[18:19]
	;; [unrolled: 3-line block ×3, first 2 shown]
	s_waitcnt vmcnt(0)
	v_add_f64 v[4:5], v[4:5], v[40:41]
	v_mul_f64 v[48:49], v[58:59], s[18:19]
	v_mul_f64 v[68:69], v[58:59], s[24:25]
	;; [unrolled: 1-line block ×6, first 2 shown]
	v_add_f64 v[2:3], v[2:3], v[38:39]
	v_add_f64 v[4:5], v[4:5], v[44:45]
	v_fma_f64 v[44:45], s[20:21], v[60:61], v[48:49]
	v_fmac_f64_e32 v[48:49], s[12:13], v[60:61]
	v_mul_f64 v[64:65], v[62:63], s[22:23]
	v_fma_f64 v[52:53], s[0:1], v[60:61], v[68:69]
	v_fmac_f64_e32 v[68:69], s[22:23], v[60:61]
	v_mul_f64 v[70:71], v[62:63], s[4:5]
	;; [unrolled: 3-line block ×4, first 2 shown]
	v_fma_f64 v[88:89], s[40:41], v[60:61], v[58:59]
	v_fmac_f64_e32 v[58:59], s[36:37], v[60:61]
	v_add_f64 v[2:3], v[2:3], v[42:43]
	v_fma_f64 v[42:43], s[18:19], v[54:55], v[46:47]
	v_add_f64 v[44:45], v[36:37], v[44:45]
	v_fma_f64 v[46:47], v[54:55], s[18:19], -v[46:47]
	v_add_f64 v[48:49], v[36:37], v[48:49]
	v_fma_f64 v[50:51], s[24:25], v[54:55], v[64:65]
	v_add_f64 v[52:53], v[36:37], v[52:53]
	v_fma_f64 v[64:65], v[54:55], s[24:25], -v[64:65]
	;; [unrolled: 4-line block ×5, first 2 shown]
	v_add_f64 v[36:37], v[36:37], v[58:59]
	v_add_f64 v[58:59], v[32:33], v[40:41]
	v_add_f64 v[32:33], v[32:33], -v[40:41]
	v_add_f64 v[42:43], v[34:35], v[42:43]
	v_add_f64 v[46:47], v[34:35], v[46:47]
	;; [unrolled: 1-line block ×11, first 2 shown]
	v_add_f64 v[30:31], v[30:31], -v[38:39]
	v_mul_f64 v[38:39], v[32:33], s[22:23]
	v_fma_f64 v[40:41], s[24:25], v[54:55], v[38:39]
	v_add_f64 v[40:41], v[40:41], v[42:43]
	v_mul_f64 v[42:43], v[58:59], s[24:25]
	v_fma_f64 v[38:39], v[54:55], s[24:25], -v[38:39]
	v_fma_f64 v[60:61], s[0:1], v[30:31], v[42:43]
	v_add_f64 v[38:39], v[38:39], v[46:47]
	v_fmac_f64_e32 v[42:43], s[22:23], v[30:31]
	v_mul_f64 v[46:47], v[32:33], s[28:29]
	v_add_f64 v[42:43], v[42:43], v[48:49]
	v_fma_f64 v[48:49], s[30:31], v[54:55], v[46:47]
	v_add_f64 v[48:49], v[48:49], v[50:51]
	v_mul_f64 v[50:51], v[58:59], s[30:31]
	v_add_f64 v[44:45], v[60:61], v[44:45]
	v_fma_f64 v[60:61], s[34:35], v[30:31], v[50:51]
	v_add_f64 v[52:53], v[60:61], v[52:53]
	v_fma_f64 v[46:47], v[54:55], s[30:31], -v[46:47]
	v_mul_f64 v[60:61], v[32:33], s[40:41]
	v_add_f64 v[46:47], v[46:47], v[64:65]
	v_fmac_f64_e32 v[50:51], s[28:29], v[30:31]
	v_fma_f64 v[62:63], s[38:39], v[54:55], v[60:61]
	v_mul_f64 v[64:65], v[58:59], s[38:39]
	v_fma_f64 v[60:61], v[54:55], s[38:39], -v[60:61]
	v_add_f64 v[50:51], v[50:51], v[68:69]
	v_fma_f64 v[68:69], s[36:37], v[30:31], v[64:65]
	v_add_f64 v[60:61], v[60:61], v[70:71]
	v_fmac_f64_e32 v[64:65], s[40:41], v[30:31]
	v_mul_f64 v[70:71], v[32:33], s[26:27]
	v_add_f64 v[62:63], v[62:63], v[72:73]
	v_add_f64 v[64:65], v[64:65], v[74:75]
	v_fma_f64 v[72:73], s[6:7], v[54:55], v[70:71]
	v_mul_f64 v[74:75], v[58:59], s[6:7]
	v_mul_f64 v[58:59], v[58:59], s[18:19]
	v_add_f64 v[68:69], v[68:69], v[76:77]
	v_add_f64 v[72:73], v[72:73], v[80:81]
	v_fma_f64 v[76:77], s[4:5], v[30:31], v[74:75]
	v_fma_f64 v[80:81], s[12:13], v[30:31], v[58:59]
	v_fmac_f64_e32 v[58:59], s[20:21], v[30:31]
	v_add_f64 v[76:77], v[76:77], v[84:85]
	v_fma_f64 v[70:71], v[54:55], s[6:7], -v[70:71]
	v_mul_f64 v[32:33], v[32:33], s[20:21]
	v_add_f64 v[84:85], v[58:59], v[36:37]
	v_add_f64 v[58:59], v[24:25], v[28:29]
	;; [unrolled: 1-line block ×3, first 2 shown]
	v_fmac_f64_e32 v[74:75], s[26:27], v[30:31]
	v_fma_f64 v[78:79], s[18:19], v[54:55], v[32:33]
	v_add_f64 v[80:81], v[80:81], v[88:89]
	v_fma_f64 v[32:33], v[54:55], s[18:19], -v[32:33]
	v_add_f64 v[88:89], v[22:23], -v[26:27]
	v_add_f64 v[54:55], v[24:25], -v[28:29]
	v_mul_f64 v[36:37], v[58:59], s[38:39]
	v_add_f64 v[74:75], v[74:75], v[82:83]
	v_add_f64 v[78:79], v[78:79], v[86:87]
	;; [unrolled: 1-line block ×4, first 2 shown]
	v_mul_f64 v[28:29], v[58:59], s[6:7]
	v_mul_f64 v[34:35], v[54:55], s[40:41]
	v_fma_f64 v[32:33], s[36:37], v[88:89], v[36:37]
	v_fmac_f64_e32 v[36:37], s[40:41], v[88:89]
	v_mul_f64 v[26:27], v[54:55], s[4:5]
	v_fma_f64 v[24:25], s[26:27], v[88:89], v[28:29]
	v_fma_f64 v[30:31], s[38:39], v[86:87], v[34:35]
	v_fma_f64 v[34:35], v[86:87], s[38:39], -v[34:35]
	v_add_f64 v[36:37], v[36:37], v[50:51]
	v_mul_f64 v[50:51], v[54:55], s[12:13]
	v_fma_f64 v[22:23], s[6:7], v[86:87], v[26:27]
	v_add_f64 v[24:25], v[24:25], v[44:45]
	v_add_f64 v[34:35], v[34:35], v[46:47]
	v_mul_f64 v[44:45], v[58:59], s[24:25]
	v_fma_f64 v[46:47], s[18:19], v[86:87], v[50:51]
	v_fma_f64 v[50:51], v[86:87], s[18:19], -v[50:51]
	v_add_f64 v[22:23], v[22:23], v[40:41]
	v_fmac_f64_e32 v[28:29], s[4:5], v[88:89]
	v_fma_f64 v[40:41], s[22:23], v[88:89], v[44:45]
	v_add_f64 v[50:51], v[50:51], v[70:71]
	v_add_f64 v[70:71], v[16:17], v[20:21]
	v_add_f64 v[16:17], v[16:17], -v[20:21]
	v_fma_f64 v[26:27], v[86:87], s[6:7], -v[26:27]
	v_add_f64 v[28:29], v[28:29], v[42:43]
	v_mul_f64 v[42:43], v[54:55], s[0:1]
	v_add_f64 v[40:41], v[40:41], v[68:69]
	v_add_f64 v[68:69], v[14:15], v[18:19]
	v_add_f64 v[14:15], v[14:15], -v[18:19]
	v_mul_f64 v[18:19], v[16:17], s[28:29]
	v_add_f64 v[26:27], v[26:27], v[38:39]
	v_add_f64 v[32:33], v[32:33], v[52:53]
	v_fma_f64 v[38:39], s[24:25], v[86:87], v[42:43]
	v_fma_f64 v[42:43], v[86:87], s[24:25], -v[42:43]
	v_mul_f64 v[52:53], v[58:59], s[18:19]
	v_fma_f64 v[20:21], s[30:31], v[68:69], v[18:19]
	v_add_f64 v[30:31], v[30:31], v[48:49]
	v_add_f64 v[42:43], v[42:43], v[60:61]
	;; [unrolled: 1-line block ×3, first 2 shown]
	v_fma_f64 v[48:49], s[20:21], v[88:89], v[52:53]
	v_mul_f64 v[60:61], v[54:55], s[28:29]
	v_add_f64 v[72:73], v[20:21], v[22:23]
	v_mul_f64 v[20:21], v[70:71], s[30:31]
	v_fma_f64 v[18:19], v[68:69], s[30:31], -v[18:19]
	v_add_f64 v[38:39], v[38:39], v[62:63]
	v_add_f64 v[48:49], v[48:49], v[76:77]
	v_fma_f64 v[54:55], s[30:31], v[86:87], v[60:61]
	v_mul_f64 v[62:63], v[58:59], s[30:31]
	v_fma_f64 v[22:23], s[34:35], v[14:15], v[20:21]
	v_add_f64 v[76:77], v[18:19], v[26:27]
	v_fmac_f64_e32 v[20:21], s[28:29], v[14:15]
	v_mul_f64 v[18:19], v[16:17], s[26:27]
	v_add_f64 v[54:55], v[54:55], v[78:79]
	v_fma_f64 v[58:59], s[34:35], v[88:89], v[62:63]
	v_add_f64 v[78:79], v[20:21], v[28:29]
	v_fma_f64 v[20:21], s[6:7], v[68:69], v[18:19]
	v_fmac_f64_e32 v[52:53], s[12:13], v[88:89]
	v_add_f64 v[58:59], v[58:59], v[80:81]
	v_fmac_f64_e32 v[62:63], s[28:29], v[88:89]
	v_add_f64 v[80:81], v[20:21], v[30:31]
	v_mul_f64 v[20:21], v[70:71], s[6:7]
	v_fma_f64 v[18:19], v[68:69], s[6:7], -v[18:19]
	v_add_f64 v[52:53], v[52:53], v[74:75]
	v_add_f64 v[62:63], v[62:63], v[84:85]
	;; [unrolled: 1-line block ×3, first 2 shown]
	v_fma_f64 v[22:23], s[4:5], v[14:15], v[20:21]
	v_add_f64 v[84:85], v[18:19], v[34:35]
	v_fmac_f64_e32 v[20:21], s[26:27], v[14:15]
	v_mul_f64 v[18:19], v[16:17], s[12:13]
	v_fmac_f64_e32 v[44:45], s[0:1], v[88:89]
	v_fma_f64 v[60:61], v[86:87], s[30:31], -v[60:61]
	v_add_f64 v[86:87], v[20:21], v[36:37]
	v_fma_f64 v[20:21], s[18:19], v[68:69], v[18:19]
	v_add_f64 v[44:45], v[44:45], v[64:65]
	v_add_f64 v[64:65], v[20:21], v[38:39]
	v_mul_f64 v[20:21], v[70:71], s[18:19]
	v_fma_f64 v[18:19], v[68:69], s[18:19], -v[18:19]
	v_add_f64 v[60:61], v[60:61], v[82:83]
	v_add_f64 v[82:83], v[22:23], v[32:33]
	v_fma_f64 v[22:23], s[20:21], v[14:15], v[20:21]
	v_add_f64 v[36:37], v[18:19], v[42:43]
	v_fmac_f64_e32 v[20:21], s[12:13], v[14:15]
	v_mul_f64 v[18:19], v[16:17], s[36:37]
	v_add_f64 v[32:33], v[20:21], v[44:45]
	v_fma_f64 v[20:21], s[38:39], v[68:69], v[18:19]
	v_add_f64 v[28:29], v[20:21], v[46:47]
	v_mul_f64 v[20:21], v[70:71], s[38:39]
	v_fma_f64 v[18:19], v[68:69], s[38:39], -v[18:19]
	v_mul_f64 v[16:17], v[16:17], s[0:1]
	v_add_f64 v[38:39], v[22:23], v[40:41]
	v_fma_f64 v[22:23], s[40:41], v[14:15], v[20:21]
	v_add_f64 v[24:25], v[18:19], v[50:51]
	v_fmac_f64_e32 v[20:21], s[36:37], v[14:15]
	v_fma_f64 v[18:19], s[24:25], v[68:69], v[16:17]
	v_mul_f64 v[30:31], v[70:71], s[24:25]
	v_add_f64 v[26:27], v[22:23], v[48:49]
	v_add_f64 v[22:23], v[20:21], v[52:53]
	v_add_f64 v[20:21], v[18:19], v[54:55]
	v_fma_f64 v[18:19], s[22:23], v[14:15], v[30:31]
	v_fma_f64 v[16:17], v[68:69], s[24:25], -v[16:17]
	v_fmac_f64_e32 v[30:31], s[0:1], v[14:15]
	v_add_f64 v[34:35], v[8:9], v[12:13]
	v_add_f64 v[16:17], v[16:17], v[60:61]
	;; [unrolled: 1-line block ×4, first 2 shown]
	v_add_f64 v[10:11], v[6:7], -v[10:11]
	v_add_f64 v[12:13], v[8:9], -v[12:13]
	v_mul_f64 v[60:61], v[34:35], s[30:31]
	v_add_f64 v[18:19], v[18:19], v[58:59]
	v_mul_f64 v[58:59], v[12:13], s[28:29]
	v_fma_f64 v[54:55], s[34:35], v[10:11], v[60:61]
	v_add_f64 v[54:55], v[54:55], v[38:39]
	v_fma_f64 v[38:39], v[30:31], s[30:31], -v[58:59]
	v_fmac_f64_e32 v[60:61], s[28:29], v[10:11]
	v_add_f64 v[36:37], v[38:39], v[36:37]
	v_add_f64 v[38:39], v[60:61], v[32:33]
	v_mul_f64 v[32:33], v[12:13], s[0:1]
	v_fma_f64 v[52:53], s[30:31], v[30:31], v[58:59]
	v_fma_f64 v[58:59], s[24:25], v[30:31], v[32:33]
	v_add_f64 v[58:59], v[58:59], v[28:29]
	v_mul_f64 v[28:29], v[34:35], s[24:25]
	v_mul_f64 v[6:7], v[12:13], s[36:37]
	v_fma_f64 v[60:61], s[22:23], v[10:11], v[28:29]
	v_fma_f64 v[8:9], s[38:39], v[30:31], v[6:7]
	v_mul_f64 v[48:49], v[12:13], s[20:21]
	v_add_f64 v[60:61], v[60:61], v[26:27]
	v_fma_f64 v[26:27], v[30:31], s[24:25], -v[32:33]
	v_fmac_f64_e32 v[28:29], s[0:1], v[10:11]
	v_mul_f64 v[12:13], v[12:13], s[4:5]
	v_add_f64 v[40:41], v[8:9], v[72:73]
	v_mul_f64 v[8:9], v[34:35], s[38:39]
	v_mul_f64 v[50:51], v[34:35], s[18:19]
	v_add_f64 v[24:25], v[26:27], v[24:25]
	v_add_f64 v[26:27], v[28:29], v[22:23]
	v_fma_f64 v[22:23], s[6:7], v[30:31], v[12:13]
	v_mul_f64 v[28:29], v[34:35], s[6:7]
	v_fma_f64 v[42:43], s[40:41], v[10:11], v[8:9]
	v_fmac_f64_e32 v[8:9], s[36:37], v[10:11]
	v_fma_f64 v[46:47], s[12:13], v[10:11], v[50:51]
	v_fmac_f64_e32 v[50:51], s[20:21], v[10:11]
	v_add_f64 v[20:21], v[22:23], v[20:21]
	v_fma_f64 v[22:23], s[26:27], v[10:11], v[28:29]
	v_fmac_f64_e32 v[28:29], s[4:5], v[10:11]
	v_mul_u32_u24_e32 v10, 0x790, v66
	v_lshlrev_b32_e32 v11, 4, v1
	v_fma_f64 v[6:7], v[30:31], s[38:39], -v[6:7]
	v_fma_f64 v[44:45], s[18:19], v[30:31], v[48:49]
	v_fma_f64 v[48:49], v[30:31], s[18:19], -v[48:49]
	v_fma_f64 v[12:13], v[30:31], s[6:7], -v[12:13]
	v_add3_u32 v57, 0, v10, v11
	v_add_f64 v[42:43], v[42:43], v[74:75]
	v_add_f64 v[6:7], v[6:7], v[76:77]
	;; [unrolled: 1-line block ×11, first 2 shown]
	ds_write_b128 v57, v[2:5]
	ds_write_b128 v57, v[40:43] offset:176
	ds_write_b128 v57, v[44:47] offset:352
	ds_write_b128 v57, v[52:55] offset:528
	ds_write_b128 v57, v[58:61] offset:704
	ds_write_b128 v57, v[20:23] offset:880
	ds_write_b128 v57, v[12:15] offset:1056
	ds_write_b128 v57, v[24:27] offset:1232
	ds_write_b128 v57, v[36:39] offset:1408
	ds_write_b128 v57, v[48:51] offset:1584
	ds_write_b128 v57, v[6:9] offset:1760
	v_mul_lo_u16_e32 v2, 24, v66
	v_mov_b32_e32 v3, 11
	v_mul_lo_u16_sdwa v2, v2, v3 dst_sel:DWORD dst_unused:UNUSED_PAD src0_sel:BYTE_1 src1_sel:DWORD
	v_sub_u16_e32 v2, v66, v2
	v_and_b32_e32 v90, 0xff, v2
	v_mul_u32_u24_e32 v2, 10, v90
	v_lshlrev_b32_e32 v42, 4, v2
	s_waitcnt lgkmcnt(0)
	s_barrier
	global_load_dwordx4 v[2:5], v42, s[42:43]
	global_load_dwordx4 v[6:9], v42, s[42:43] offset:16
	global_load_dwordx4 v[10:13], v42, s[42:43] offset:32
	;; [unrolled: 1-line block ×9, first 2 shown]
	v_mad_i32_i24 v57, v66, s11, v57
	ds_read_b128 v[42:45], v57
	ds_read_b128 v[46:49], v57 offset:1936
	ds_read_b128 v[50:53], v57 offset:3872
	;; [unrolled: 1-line block ×9, first 2 shown]
	v_mul_lo_u32 v1, s10, v1
	s_waitcnt vmcnt(9) lgkmcnt(8)
	v_mul_f64 v[54:55], v[48:49], v[4:5]
	v_mul_f64 v[4:5], v[46:47], v[4:5]
	v_fmac_f64_e32 v[54:55], v[46:47], v[2:3]
	v_fma_f64 v[86:87], v[48:49], v[2:3], -v[4:5]
	s_waitcnt vmcnt(8) lgkmcnt(7)
	v_mul_f64 v[88:89], v[52:53], v[8:9]
	v_mul_f64 v[2:3], v[50:51], v[8:9]
	ds_read_b128 v[46:49], v57 offset:19360
	v_fmac_f64_e32 v[88:89], v[50:51], v[6:7]
	v_fma_f64 v[50:51], v[52:53], v[6:7], -v[2:3]
	s_waitcnt vmcnt(7) lgkmcnt(7)
	v_mul_f64 v[52:53], v[60:61], v[12:13]
	v_mul_f64 v[2:3], v[58:59], v[12:13]
	s_waitcnt vmcnt(5) lgkmcnt(5)
	v_mul_f64 v[4:5], v[66:67], v[20:21]
	v_fmac_f64_e32 v[52:53], v[58:59], v[10:11]
	v_fma_f64 v[58:59], v[60:61], v[10:11], -v[2:3]
	v_mul_f64 v[92:93], v[64:65], v[16:17]
	v_mul_f64 v[2:3], v[62:63], v[16:17]
	v_fma_f64 v[8:9], v[68:69], v[18:19], -v[4:5]
	s_waitcnt vmcnt(4) lgkmcnt(4)
	v_mul_f64 v[4:5], v[70:71], v[24:25]
	v_fmac_f64_e32 v[92:93], v[62:63], v[14:15]
	v_fma_f64 v[62:63], v[64:65], v[14:15], -v[2:3]
	v_mul_f64 v[2:3], v[68:69], v[20:21]
	v_fma_f64 v[12:13], v[72:73], v[22:23], -v[4:5]
	s_waitcnt vmcnt(3) lgkmcnt(3)
	v_mul_f64 v[4:5], v[74:75], v[28:29]
	v_fmac_f64_e32 v[2:3], v[66:67], v[18:19]
	v_fma_f64 v[66:67], v[76:77], v[26:27], -v[4:5]
	s_waitcnt vmcnt(2) lgkmcnt(2)
	v_mul_f64 v[4:5], v[78:79], v[32:33]
	v_fma_f64 v[16:17], v[80:81], v[30:31], -v[4:5]
	s_waitcnt vmcnt(1) lgkmcnt(1)
	v_mul_f64 v[4:5], v[82:83], v[36:37]
	;; [unrolled: 3-line block ×3, first 2 shown]
	v_mul_f64 v[10:11], v[72:73], v[24:25]
	v_fma_f64 v[24:25], v[48:49], v[38:39], -v[4:5]
	v_add_f64 v[4:5], v[42:43], v[54:55]
	v_add_f64 v[6:7], v[44:45], v[86:87]
	;; [unrolled: 1-line block ×8, first 2 shown]
	v_fmac_f64_e32 v[10:11], v[70:71], v[22:23]
	v_mul_f64 v[64:65], v[76:77], v[28:29]
	v_add_f64 v[4:5], v[4:5], v[2:3]
	v_add_f64 v[6:7], v[6:7], v[8:9]
	v_fmac_f64_e32 v[64:65], v[74:75], v[26:27]
	v_mul_f64 v[14:15], v[80:81], v[32:33]
	v_add_f64 v[4:5], v[4:5], v[10:11]
	v_add_f64 v[6:7], v[6:7], v[12:13]
	;; [unrolled: 4-line block ×4, first 2 shown]
	v_fmac_f64_e32 v[22:23], v[46:47], v[38:39]
	v_add_f64 v[4:5], v[4:5], v[18:19]
	v_add_f64 v[6:7], v[6:7], v[20:21]
	;; [unrolled: 1-line block ×6, first 2 shown]
	v_add_f64 v[22:23], v[54:55], -v[22:23]
	v_add_f64 v[24:25], v[86:87], -v[24:25]
	v_mul_f64 v[34:35], v[28:29], s[18:19]
	v_mul_f64 v[46:47], v[28:29], s[24:25]
	;; [unrolled: 1-line block ×10, first 2 shown]
	v_fma_f64 v[82:83], s[40:41], v[22:23], v[28:29]
	v_fmac_f64_e32 v[28:29], s[36:37], v[22:23]
	v_fma_f64 v[32:33], s[18:19], v[26:27], v[30:31]
	v_fma_f64 v[36:37], s[20:21], v[22:23], v[34:35]
	v_fma_f64 v[30:31], v[26:27], s[18:19], -v[30:31]
	v_fmac_f64_e32 v[34:35], s[12:13], v[22:23]
	v_fma_f64 v[40:41], s[24:25], v[26:27], v[38:39]
	v_fma_f64 v[48:49], s[0:1], v[22:23], v[46:47]
	v_fma_f64 v[38:39], v[26:27], s[24:25], -v[38:39]
	;; [unrolled: 4-line block ×4, first 2 shown]
	v_fmac_f64_e32 v[76:77], s[28:29], v[22:23]
	v_fma_f64 v[80:81], s[38:39], v[26:27], v[24:25]
	v_fma_f64 v[24:25], v[26:27], s[38:39], -v[24:25]
	v_add_f64 v[22:23], v[44:45], v[28:29]
	v_add_f64 v[28:29], v[50:51], v[20:21]
	v_add_f64 v[20:21], v[50:51], -v[20:21]
	v_add_f64 v[32:33], v[42:43], v[32:33]
	v_add_f64 v[30:31], v[42:43], v[30:31]
	;; [unrolled: 1-line block ×11, first 2 shown]
	v_mul_f64 v[42:43], v[20:21], s[22:23]
	v_add_f64 v[36:37], v[44:45], v[36:37]
	v_add_f64 v[34:35], v[44:45], v[34:35]
	v_add_f64 v[48:49], v[44:45], v[48:49]
	v_add_f64 v[46:47], v[44:45], v[46:47]
	v_add_f64 v[70:71], v[44:45], v[70:71]
	v_add_f64 v[68:69], v[44:45], v[68:69]
	v_add_f64 v[78:79], v[44:45], v[78:79]
	v_add_f64 v[76:77], v[44:45], v[76:77]
	v_add_f64 v[82:83], v[44:45], v[82:83]
	v_fma_f64 v[44:45], s[24:25], v[26:27], v[42:43]
	v_add_f64 v[18:19], v[88:89], -v[18:19]
	v_add_f64 v[32:33], v[44:45], v[32:33]
	v_mul_f64 v[44:45], v[28:29], s[24:25]
	v_fma_f64 v[42:43], v[26:27], s[24:25], -v[42:43]
	v_fma_f64 v[50:51], s[0:1], v[18:19], v[44:45]
	v_add_f64 v[30:31], v[42:43], v[30:31]
	v_fmac_f64_e32 v[44:45], s[22:23], v[18:19]
	v_mul_f64 v[42:43], v[20:21], s[28:29]
	v_add_f64 v[34:35], v[44:45], v[34:35]
	v_fma_f64 v[44:45], s[30:31], v[26:27], v[42:43]
	v_add_f64 v[40:41], v[44:45], v[40:41]
	v_mul_f64 v[44:45], v[28:29], s[30:31]
	v_add_f64 v[36:37], v[50:51], v[36:37]
	v_fma_f64 v[50:51], s[34:35], v[18:19], v[44:45]
	v_fma_f64 v[42:43], v[26:27], s[30:31], -v[42:43]
	v_fmac_f64_e32 v[44:45], s[28:29], v[18:19]
	v_add_f64 v[38:39], v[42:43], v[38:39]
	v_add_f64 v[42:43], v[44:45], v[46:47]
	v_mul_f64 v[44:45], v[20:21], s[40:41]
	v_add_f64 v[48:49], v[50:51], v[48:49]
	v_fma_f64 v[46:47], s[38:39], v[26:27], v[44:45]
	v_mul_f64 v[50:51], v[28:29], s[38:39]
	v_fma_f64 v[44:45], v[26:27], s[38:39], -v[44:45]
	v_add_f64 v[46:47], v[46:47], v[60:61]
	v_fma_f64 v[60:61], s[36:37], v[18:19], v[50:51]
	v_add_f64 v[44:45], v[44:45], v[54:55]
	v_fmac_f64_e32 v[50:51], s[40:41], v[18:19]
	v_mul_f64 v[54:55], v[20:21], s[26:27]
	v_add_f64 v[60:61], v[60:61], v[70:71]
	v_add_f64 v[50:51], v[50:51], v[68:69]
	v_fma_f64 v[68:69], s[6:7], v[26:27], v[54:55]
	v_mul_f64 v[70:71], v[28:29], s[6:7]
	v_add_f64 v[68:69], v[68:69], v[74:75]
	v_fma_f64 v[74:75], s[4:5], v[18:19], v[70:71]
	v_fmac_f64_e32 v[70:71], s[26:27], v[18:19]
	v_mul_f64 v[28:29], v[28:29], s[18:19]
	v_add_f64 v[70:71], v[70:71], v[76:77]
	v_fma_f64 v[76:77], s[12:13], v[18:19], v[28:29]
	v_add_f64 v[84:85], v[58:59], v[16:17]
	v_add_f64 v[58:59], v[58:59], -v[16:17]
	v_add_f64 v[76:77], v[76:77], v[82:83]
	v_add_f64 v[82:83], v[52:53], v[14:15]
	v_add_f64 v[52:53], v[52:53], -v[14:15]
	v_mul_f64 v[14:15], v[58:59], s[4:5]
	v_fma_f64 v[16:17], s[6:7], v[82:83], v[14:15]
	v_add_f64 v[86:87], v[16:17], v[32:33]
	v_mul_f64 v[16:17], v[84:85], s[6:7]
	v_fma_f64 v[14:15], v[82:83], s[6:7], -v[14:15]
	v_fmac_f64_e32 v[28:29], s[20:21], v[18:19]
	v_fma_f64 v[18:19], s[26:27], v[52:53], v[16:17]
	v_add_f64 v[94:95], v[14:15], v[30:31]
	v_fmac_f64_e32 v[16:17], s[4:5], v[52:53]
	v_mul_f64 v[14:15], v[58:59], s[40:41]
	v_fma_f64 v[54:55], v[26:27], s[6:7], -v[54:55]
	v_mul_f64 v[20:21], v[20:21], s[20:21]
	v_add_f64 v[96:97], v[16:17], v[34:35]
	v_fma_f64 v[16:17], s[38:39], v[82:83], v[14:15]
	v_add_f64 v[54:55], v[54:55], v[72:73]
	v_fma_f64 v[72:73], s[18:19], v[26:27], v[20:21]
	v_add_f64 v[98:99], v[16:17], v[40:41]
	v_mul_f64 v[16:17], v[84:85], s[38:39]
	v_add_f64 v[72:73], v[72:73], v[80:81]
	v_fma_f64 v[20:21], v[26:27], s[18:19], -v[20:21]
	v_add_f64 v[80:81], v[28:29], v[22:23]
	v_add_f64 v[88:89], v[18:19], v[36:37]
	v_fma_f64 v[18:19], s[36:37], v[52:53], v[16:17]
	v_mul_f64 v[22:23], v[84:85], s[24:25]
	v_add_f64 v[74:75], v[74:75], v[78:79]
	v_add_f64 v[78:79], v[20:21], v[24:25]
	;; [unrolled: 1-line block ×3, first 2 shown]
	v_fma_f64 v[14:15], v[82:83], s[38:39], -v[14:15]
	v_fmac_f64_e32 v[16:17], s[40:41], v[52:53]
	v_mul_f64 v[20:21], v[58:59], s[0:1]
	v_fma_f64 v[18:19], s[22:23], v[52:53], v[22:23]
	v_mul_f64 v[28:29], v[58:59], s[12:13]
	v_mul_f64 v[36:37], v[58:59], s[28:29]
	v_add_f64 v[102:103], v[14:15], v[38:39]
	v_add_f64 v[14:15], v[16:17], v[42:43]
	v_fma_f64 v[16:17], s[24:25], v[82:83], v[20:21]
	v_add_f64 v[18:19], v[18:19], v[60:61]
	v_fma_f64 v[20:21], v[82:83], s[24:25], -v[20:21]
	v_fma_f64 v[24:25], s[18:19], v[82:83], v[28:29]
	v_fma_f64 v[28:29], v[82:83], s[18:19], -v[28:29]
	v_fma_f64 v[32:33], s[30:31], v[82:83], v[36:37]
	v_fma_f64 v[36:37], v[82:83], s[30:31], -v[36:37]
	v_add_f64 v[60:61], v[62:63], v[66:67]
	v_add_f64 v[62:63], v[62:63], -v[66:67]
	v_add_f64 v[16:17], v[16:17], v[46:47]
	v_add_f64 v[20:21], v[20:21], v[44:45]
	;; [unrolled: 1-line block ×5, first 2 shown]
	v_add_f64 v[58:59], v[92:93], -v[64:65]
	v_mul_f64 v[44:45], v[62:63], s[28:29]
	v_mul_f64 v[46:47], v[60:61], s[30:31]
	v_mul_lo_u32 v78, v56, v90
	v_mov_b32_e32 v92, 4
	v_fma_f64 v[40:41], s[30:31], v[54:55], v[44:45]
	v_fma_f64 v[42:43], s[34:35], v[58:59], v[46:47]
	v_fma_f64 v[44:45], v[54:55], s[30:31], -v[44:45]
	v_fmac_f64_e32 v[46:47], s[28:29], v[58:59]
	v_lshlrev_b32_sdwa v66, v92, v78 dst_sel:DWORD dst_unused:UNUSED_PAD src0_sel:DWORD src1_sel:BYTE_0
	v_bfe_u32 v67, v78, 8, 8
	v_mov_b32_e32 v57, 0x1000
	v_mul_f64 v[30:31], v[84:85], s[18:19]
	v_mul_f64 v[38:39], v[84:85], s[30:31]
	v_add_f64 v[40:41], v[40:41], v[86:87]
	v_add_f64 v[44:45], v[44:45], v[94:95]
	;; [unrolled: 1-line block ×3, first 2 shown]
	v_lshl_or_b32 v67, v67, 4, v57
	global_load_dwordx4 v[84:87], v66, s[16:17]
	global_load_dwordx4 v[94:97], v67, s[16:17]
	v_fmac_f64_e32 v[22:23], s[0:1], v[52:53]
	v_mul_f64 v[64:65], v[60:61], s[6:7]
	v_add_f64 v[22:23], v[22:23], v[50:51]
	v_fma_f64 v[26:27], s[20:21], v[52:53], v[30:31]
	v_fmac_f64_e32 v[30:31], s[12:13], v[52:53]
	v_fma_f64 v[50:51], s[4:5], v[58:59], v[64:65]
	v_fmac_f64_e32 v[64:65], s[26:27], v[58:59]
	v_add_f64 v[30:31], v[30:31], v[70:71]
	v_add_f64 v[70:71], v[64:65], v[14:15]
	v_mul_f64 v[14:15], v[62:63], s[12:13]
	v_fma_f64 v[64:65], s[18:19], v[54:55], v[14:15]
	v_add_f64 v[16:17], v[64:65], v[16:17]
	v_mul_f64 v[64:65], v[60:61], s[18:19]
	v_fma_f64 v[14:15], v[54:55], s[18:19], -v[14:15]
	v_fma_f64 v[66:67], s[20:21], v[58:59], v[64:65]
	v_add_f64 v[20:21], v[14:15], v[20:21]
	v_mul_f64 v[14:15], v[62:63], s[36:37]
	v_add_f64 v[24:25], v[24:25], v[68:69]
	v_add_f64 v[32:33], v[32:33], v[72:73]
	;; [unrolled: 1-line block ×3, first 2 shown]
	v_fma_f64 v[18:19], s[38:39], v[54:55], v[14:15]
	v_fma_f64 v[34:35], s[34:35], v[52:53], v[38:39]
	v_fmac_f64_e32 v[64:65], s[12:13], v[58:59]
	v_add_f64 v[24:25], v[18:19], v[24:25]
	v_mul_f64 v[18:19], v[60:61], s[38:39]
	v_fma_f64 v[14:15], v[54:55], s[38:39], -v[14:15]
	v_add_f64 v[34:35], v[34:35], v[76:77]
	v_fmac_f64_e32 v[38:39], s[28:29], v[52:53]
	v_add_f64 v[22:23], v[64:65], v[22:23]
	v_fma_f64 v[64:65], s[40:41], v[58:59], v[18:19]
	v_add_f64 v[76:77], v[14:15], v[28:29]
	v_fmac_f64_e32 v[18:19], s[36:37], v[58:59]
	v_mul_f64 v[14:15], v[62:63], s[0:1]
	v_add_f64 v[38:39], v[38:39], v[80:81]
	v_add_f64 v[80:81], v[18:19], v[30:31]
	v_fma_f64 v[18:19], s[24:25], v[54:55], v[14:15]
	v_mul_f64 v[52:53], v[62:63], s[26:27]
	v_add_f64 v[62:63], v[18:19], v[32:33]
	v_mul_f64 v[18:19], v[60:61], s[24:25]
	v_fma_f64 v[28:29], s[22:23], v[58:59], v[18:19]
	v_fmac_f64_e32 v[18:19], s[0:1], v[58:59]
	v_fma_f64 v[14:15], v[54:55], s[24:25], -v[14:15]
	v_add_f64 v[30:31], v[18:19], v[38:39]
	v_add_f64 v[38:39], v[8:9], -v[12:13]
	v_add_f64 v[34:35], v[28:29], v[34:35]
	v_add_f64 v[28:29], v[14:15], v[36:37]
	;; [unrolled: 1-line block ×4, first 2 shown]
	v_mul_f64 v[12:13], v[38:39], s[36:37]
	v_add_f64 v[26:27], v[26:27], v[74:75]
	v_fma_f64 v[48:49], s[6:7], v[54:55], v[52:53]
	v_add_f64 v[2:3], v[2:3], -v[10:11]
	v_fma_f64 v[8:9], s[38:39], v[32:33], v[12:13]
	v_mul_f64 v[14:15], v[36:37], s[38:39]
	v_fma_f64 v[12:13], v[32:33], s[38:39], -v[12:13]
	v_mul_f64 v[18:19], v[38:39], s[20:21]
	v_add_f64 v[48:49], v[48:49], v[98:99]
	v_add_f64 v[26:27], v[64:65], v[26:27]
	;; [unrolled: 1-line block ×3, first 2 shown]
	v_fma_f64 v[10:11], s[40:41], v[2:3], v[14:15]
	v_add_f64 v[64:65], v[12:13], v[44:45]
	v_fmac_f64_e32 v[14:15], s[36:37], v[2:3]
	v_fma_f64 v[12:13], s[18:19], v[32:33], v[18:19]
	v_mul_f64 v[40:41], v[36:37], s[18:19]
	v_fma_f64 v[52:53], v[54:55], s[6:7], -v[52:53]
	v_add_f64 v[66:67], v[14:15], v[46:47]
	v_add_f64 v[14:15], v[12:13], v[48:49]
	v_fma_f64 v[12:13], s[12:13], v[2:3], v[40:41]
	v_fmac_f64_e32 v[40:41], s[20:21], v[2:3]
	v_add_f64 v[42:43], v[42:43], v[88:89]
	v_add_f64 v[52:53], v[52:53], v[102:103]
	v_fma_f64 v[18:19], v[32:33], s[18:19], -v[18:19]
	v_add_f64 v[70:71], v[40:41], v[70:71]
	v_mul_f64 v[40:41], v[38:39], s[28:29]
	v_add_f64 v[10:11], v[10:11], v[42:43]
	v_add_f64 v[68:69], v[18:19], v[52:53]
	v_fma_f64 v[18:19], s[30:31], v[32:33], v[40:41]
	v_mul_f64 v[42:43], v[36:37], s[30:31]
	v_add_f64 v[18:19], v[18:19], v[16:17]
	v_fma_f64 v[16:17], s[34:35], v[2:3], v[42:43]
	v_fma_f64 v[40:41], v[32:33], s[30:31], -v[40:41]
	v_add_f64 v[16:17], v[16:17], v[72:73]
	v_add_f64 v[72:73], v[40:41], v[20:21]
	v_mul_f64 v[40:41], v[38:39], s[0:1]
	v_fmac_f64_e32 v[42:43], s[28:29], v[2:3]
	v_fma_f64 v[20:21], s[24:25], v[32:33], v[40:41]
	v_add_f64 v[74:75], v[42:43], v[22:23]
	v_add_f64 v[22:23], v[20:21], v[24:25]
	v_fma_f64 v[24:25], v[32:33], s[24:25], -v[40:41]
	v_mul_f64 v[54:55], v[38:39], s[4:5]
	v_mul_f64 v[82:83], v[36:37], s[24:25]
	v_add_f64 v[76:77], v[24:25], v[76:77]
	v_fma_f64 v[24:25], s[6:7], v[32:33], v[54:55]
	v_fma_f64 v[20:21], s[22:23], v[2:3], v[82:83]
	v_add_f64 v[24:25], v[24:25], v[62:63]
	v_mul_f64 v[62:63], v[36:37], s[6:7]
	v_add_f64 v[20:21], v[20:21], v[26:27]
	v_fma_f64 v[26:27], s[26:27], v[2:3], v[62:63]
	v_add_f64 v[26:27], v[26:27], v[34:35]
	v_bfe_u32 v34, v78, 16, 8
	s_waitcnt vmcnt(0)
	v_mul_f64 v[38:39], v[86:87], v[96:97]
	v_lshl_or_b32 v34, v34, 4, v91
	global_load_dwordx4 v[34:37], v34, s[16:17]
	v_fma_f64 v[88:89], v[84:85], v[94:95], -v[38:39]
	v_add_u32_e32 v38, 11, v90
	v_mul_lo_u32 v46, v56, v38
	v_bfe_u32 v42, v46, 8, 8
	v_lshlrev_b32_sdwa v38, v92, v46 dst_sel:DWORD dst_unused:UNUSED_PAD src0_sel:DWORD src1_sel:BYTE_0
	global_load_dwordx4 v[38:41], v38, s[16:17]
	v_lshl_or_b32 v42, v42, 4, v57
	global_load_dwordx4 v[42:45], v42, s[16:17]
	v_bfe_u32 v46, v46, 16, 8
	v_lshl_or_b32 v46, v46, 4, v91
	global_load_dwordx4 v[46:49], v46, s[16:17]
	v_add_f64 v[50:51], v[50:51], v[100:101]
	v_add_f64 v[12:13], v[12:13], v[50:51]
	v_add_u32_e32 v50, 22, v90
	v_mul_lo_u32 v78, v56, v50
	v_lshlrev_b32_sdwa v79, v92, v78 dst_sel:DWORD dst_unused:UNUSED_PAD src0_sel:DWORD src1_sel:BYTE_0
	v_bfe_u32 v50, v78, 8, 8
	v_mul_f64 v[96:97], v[84:85], v[96:97]
	v_lshl_or_b32 v84, v50, 4, v57
	global_load_dwordx4 v[50:53], v79, s[16:17]
	global_load_dwordx4 v[58:61], v84, s[16:17]
	v_fma_f64 v[32:33], v[32:33], s[6:7], -v[54:55]
	v_bfe_u32 v54, v78, 16, 8
	v_lshl_or_b32 v54, v54, 4, v91
	v_fmac_f64_e32 v[96:97], v[86:87], v[94:95]
	global_load_dwordx4 v[84:87], v54, s[16:17]
	v_add_f64 v[78:79], v[32:33], v[28:29]
	v_fmac_f64_e32 v[82:83], s[0:1], v[2:3]
	v_fmac_f64_e32 v[62:63], s[4:5], v[2:3]
	v_add_f64 v[28:29], v[62:63], v[30:31]
	s_movk_i32 s0, 0x79
	s_lshl_b32 s4, s9, 4
	s_mov_b32 s1, s15
	s_waitcnt vmcnt(6)
	v_mul_f64 v[32:33], v[88:89], v[36:37]
	v_mul_f64 v[2:3], v[96:97], v[36:37]
	v_fmac_f64_e32 v[32:33], v[34:35], v[96:97]
	v_fma_f64 v[30:31], v[34:35], v[88:89], -v[2:3]
	v_mul_f64 v[2:3], v[6:7], v[32:33]
	v_fmac_f64_e32 v[2:3], v[4:5], v[30:31]
	v_mul_f64 v[4:5], v[4:5], v[32:33]
	v_fma_f64 v[4:5], v[6:7], v[30:31], -v[4:5]
	s_waitcnt vmcnt(4)
	v_mul_f64 v[6:7], v[40:41], v[44:45]
	v_fma_f64 v[6:7], v[38:39], v[42:43], -v[6:7]
	v_mul_f64 v[30:31], v[38:39], v[44:45]
	v_fmac_f64_e32 v[30:31], v[40:41], v[42:43]
	s_waitcnt vmcnt(3)
	v_mul_f64 v[34:35], v[6:7], v[48:49]
	v_mul_f64 v[32:33], v[30:31], v[48:49]
	v_fmac_f64_e32 v[34:35], v[46:47], v[30:31]
	v_fma_f64 v[32:33], v[46:47], v[6:7], -v[32:33]
	v_mul_f64 v[6:7], v[10:11], v[34:35]
	v_fmac_f64_e32 v[6:7], v[8:9], v[32:33]
	v_mul_f64 v[8:9], v[8:9], v[34:35]
	v_fma_f64 v[8:9], v[10:11], v[32:33], -v[8:9]
	s_waitcnt vmcnt(1)
	v_mul_f64 v[10:11], v[52:53], v[60:61]
	v_fma_f64 v[10:11], v[50:51], v[58:59], -v[10:11]
	v_mul_f64 v[34:35], v[50:51], v[60:61]
	v_add_u32_e32 v30, 33, v90
	v_fmac_f64_e32 v[34:35], v[52:53], v[58:59]
	v_mul_lo_u32 v40, v56, v30
	s_waitcnt vmcnt(0)
	v_mul_f64 v[38:39], v[10:11], v[86:87]
	v_mul_f64 v[36:37], v[34:35], v[86:87]
	v_fmac_f64_e32 v[38:39], v[84:85], v[34:35]
	v_bfe_u32 v34, v40, 8, 8
	v_lshlrev_b32_sdwa v30, v92, v40 dst_sel:DWORD dst_unused:UNUSED_PAD src0_sel:DWORD src1_sel:BYTE_0
	v_lshl_or_b32 v34, v34, 4, v57
	global_load_dwordx4 v[30:33], v30, s[16:17]
	v_fma_f64 v[54:55], v[84:85], v[10:11], -v[36:37]
	global_load_dwordx4 v[34:37], v34, s[16:17]
	v_mul_f64 v[10:11], v[12:13], v[38:39]
	v_mul_f64 v[50:51], v[14:15], v[38:39]
	v_bfe_u32 v38, v40, 16, 8
	v_lshl_or_b32 v38, v38, 4, v91
	global_load_dwordx4 v[38:41], v38, s[16:17]
	v_add_u32_e32 v42, 44, v90
	v_mul_lo_u32 v52, v56, v42
	v_lshlrev_b32_sdwa v53, v92, v52 dst_sel:DWORD dst_unused:UNUSED_PAD src0_sel:DWORD src1_sel:BYTE_0
	v_bfe_u32 v42, v52, 8, 8
	v_lshl_or_b32 v58, v42, 4, v57
	global_load_dwordx4 v[42:45], v53, s[16:17]
	global_load_dwordx4 v[46:49], v58, s[16:17]
	v_fma_f64 v[12:13], v[12:13], v[54:55], -v[50:51]
	v_bfe_u32 v50, v52, 16, 8
	v_lshl_or_b32 v50, v50, 4, v91
	v_add_u32_e32 v58, 55, v90
	global_load_dwordx4 v[50:53], v50, s[16:17]
	v_mul_lo_u32 v62, v56, v58
	v_bfe_u32 v63, v62, 8, 8
	v_lshlrev_b32_sdwa v58, v92, v62 dst_sel:DWORD dst_unused:UNUSED_PAD src0_sel:DWORD src1_sel:BYTE_0
	v_lshl_or_b32 v63, v63, 4, v57
	global_load_dwordx4 v[84:87], v63, s[16:17]
	v_fmac_f64_e32 v[10:11], v[14:15], v[54:55]
	global_load_dwordx4 v[58:61], v58, s[16:17]
	s_waitcnt vmcnt(6)
	v_mul_f64 v[14:15], v[32:33], v[36:37]
	v_fma_f64 v[14:15], v[30:31], v[34:35], -v[14:15]
	v_mul_f64 v[30:31], v[30:31], v[36:37]
	v_fmac_f64_e32 v[30:31], v[32:33], v[34:35]
	s_waitcnt vmcnt(5)
	v_mul_f64 v[32:33], v[30:31], v[40:41]
	v_fma_f64 v[54:55], v[38:39], v[14:15], -v[32:33]
	v_mul_f64 v[32:33], v[14:15], v[40:41]
	v_fmac_f64_e32 v[32:33], v[38:39], v[30:31]
	v_mul_f64 v[14:15], v[16:17], v[32:33]
	v_mul_f64 v[30:31], v[18:19], v[32:33]
	s_waitcnt vmcnt(3)
	v_mul_f64 v[32:33], v[42:43], v[48:49]
	v_fma_f64 v[16:17], v[16:17], v[54:55], -v[30:31]
	v_mul_f64 v[30:31], v[44:45], v[48:49]
	v_fmac_f64_e32 v[32:33], v[44:45], v[46:47]
	v_fma_f64 v[30:31], v[42:43], v[46:47], -v[30:31]
	s_waitcnt vmcnt(2)
	v_mul_f64 v[34:35], v[32:33], v[52:53]
	v_fma_f64 v[88:89], v[50:51], v[30:31], -v[34:35]
	v_mul_f64 v[52:53], v[30:31], v[52:53]
	v_bfe_u32 v30, v62, 16, 8
	v_lshl_or_b32 v30, v30, 4, v91
	v_fmac_f64_e32 v[52:53], v[50:51], v[32:33]
	global_load_dwordx4 v[30:33], v30, s[16:17]
	s_waitcnt vmcnt(1)
	v_mul_f64 v[34:35], v[60:61], v[86:87]
	v_fma_f64 v[94:95], v[58:59], v[84:85], -v[34:35]
	v_add_u32_e32 v34, 0x42, v90
	v_mul_lo_u32 v42, v56, v34
	v_lshlrev_b32_sdwa v43, v92, v42 dst_sel:DWORD dst_unused:UNUSED_PAD src0_sel:DWORD src1_sel:BYTE_0
	v_bfe_u32 v34, v42, 8, 8
	v_lshl_or_b32 v44, v34, 4, v57
	global_load_dwordx4 v[34:37], v43, s[16:17]
	global_load_dwordx4 v[38:41], v44, s[16:17]
	v_bfe_u32 v42, v42, 16, 8
	v_lshl_or_b32 v42, v42, 4, v91
	global_load_dwordx4 v[42:45], v42, s[16:17]
	v_add_u32_e32 v46, 0x4d, v90
	v_mul_lo_u32 v50, v56, v46
	v_bfe_u32 v51, v50, 8, 8
	v_mul_f64 v[58:59], v[58:59], v[86:87]
	v_lshlrev_b32_sdwa v46, v92, v50 dst_sel:DWORD dst_unused:UNUSED_PAD src0_sel:DWORD src1_sel:BYTE_0
	global_load_dwordx4 v[46:49], v46, s[16:17]
	v_lshl_or_b32 v51, v51, 4, v57
	v_fmac_f64_e32 v[58:59], v[60:61], v[84:85]
	global_load_dwordx4 v[60:63], v51, s[16:17]
	v_bfe_u32 v50, v50, 16, 8
	v_fmac_f64_e32 v[14:15], v[18:19], v[54:55]
	v_mul_f64 v[18:19], v[20:21], v[52:53]
	v_lshl_or_b32 v50, v50, 4, v91
	v_fmac_f64_e32 v[18:19], v[22:23], v[88:89]
	v_mul_f64 v[22:23], v[22:23], v[52:53]
	global_load_dwordx4 v[50:53], v50, s[16:17]
	v_fma_f64 v[20:21], v[20:21], v[88:89], -v[22:23]
	s_waitcnt vmcnt(6)
	v_mul_f64 v[22:23], v[58:59], v[32:33]
	v_mul_f64 v[32:33], v[94:95], v[32:33]
	v_fmac_f64_e32 v[32:33], v[30:31], v[58:59]
	v_fma_f64 v[54:55], v[30:31], v[94:95], -v[22:23]
	v_mul_f64 v[22:23], v[26:27], v[32:33]
	v_fmac_f64_e32 v[22:23], v[24:25], v[54:55]
	v_mul_f64 v[24:25], v[24:25], v[32:33]
	v_fma_f64 v[24:25], v[26:27], v[54:55], -v[24:25]
	s_waitcnt vmcnt(4)
	v_mul_f64 v[30:31], v[34:35], v[40:41]
	v_mul_f64 v[26:27], v[36:37], v[40:41]
	v_fmac_f64_e32 v[30:31], v[36:37], v[38:39]
	v_fma_f64 v[26:27], v[34:35], v[38:39], -v[26:27]
	s_waitcnt vmcnt(3)
	v_mul_f64 v[32:33], v[30:31], v[44:45]
	v_fma_f64 v[84:85], v[42:43], v[26:27], -v[32:33]
	v_mul_f64 v[32:33], v[26:27], v[44:45]
	v_fmac_f64_e32 v[32:33], v[42:43], v[30:31]
	v_mul_f64 v[30:31], v[78:79], v[32:33]
	v_mul_f64 v[26:27], v[28:29], v[32:33]
	v_fma_f64 v[28:29], v[28:29], v[84:85], -v[30:31]
	v_fmac_f64_e32 v[26:27], v[78:79], v[84:85]
	s_waitcnt vmcnt(1)
	v_mul_f64 v[30:31], v[48:49], v[62:63]
	v_fma_f64 v[54:55], v[46:47], v[60:61], -v[30:31]
	v_add_u32_e32 v30, 0x58, v90
	v_mul_f64 v[58:59], v[46:47], v[62:63]
	v_mul_lo_u32 v38, v56, v30
	v_fmac_f64_e32 v[58:59], v[48:49], v[60:61]
	v_lshlrev_b32_sdwa v39, v92, v38 dst_sel:DWORD dst_unused:UNUSED_PAD src0_sel:DWORD src1_sel:BYTE_0
	v_bfe_u32 v30, v38, 8, 8
	v_lshl_or_b32 v40, v30, 4, v57
	global_load_dwordx4 v[30:33], v39, s[16:17]
	global_load_dwordx4 v[34:37], v40, s[16:17]
	s_waitcnt vmcnt(2)
	v_mul_f64 v[42:43], v[58:59], v[52:53]
	v_bfe_u32 v38, v38, 16, 8
	v_lshl_or_b32 v38, v38, 4, v91
	v_fma_f64 v[86:87], v[50:51], v[54:55], -v[42:43]
	v_add_u32_e32 v42, 0x63, v90
	global_load_dwordx4 v[38:41], v38, s[16:17]
	v_mul_lo_u32 v60, v56, v42
	v_bfe_u32 v46, v60, 8, 8
	v_lshlrev_b32_sdwa v42, v92, v60 dst_sel:DWORD dst_unused:UNUSED_PAD src0_sel:DWORD src1_sel:BYTE_0
	global_load_dwordx4 v[42:45], v42, s[16:17]
	v_lshl_or_b32 v46, v46, 4, v57
	global_load_dwordx4 v[46:49], v46, s[16:17]
	v_mul_f64 v[88:89], v[54:55], v[52:53]
	v_bfe_u32 v52, v60, 16, 8
	v_lshl_or_b32 v52, v52, 4, v91
	global_load_dwordx4 v[52:55], v52, s[16:17]
	v_fmac_f64_e32 v[88:89], v[50:51], v[58:59]
	v_add_u32_e32 v50, 0x6e, v90
	v_mul_lo_u32 v93, v56, v50
	v_bfe_u32 v51, v93, 8, 8
	v_lshlrev_b32_sdwa v50, v92, v93 dst_sel:DWORD dst_unused:UNUSED_PAD src0_sel:DWORD src1_sel:BYTE_0
	v_lshl_or_b32 v51, v51, 4, v57
	global_load_dwordx4 v[56:59], v50, s[16:17]
	global_load_dwordx4 v[60:63], v51, s[16:17]
	v_add_f64 v[50:51], v[82:83], v[80:81]
	v_bfe_u32 v80, v93, 16, 8
	v_lshl_or_b32 v80, v80, 4, v91
	global_load_dwordx4 v[80:83], v80, s[16:17]
	v_mul_f64 v[84:85], v[50:51], v[88:89]
	v_fmac_f64_e32 v[84:85], v[76:77], v[86:87]
	v_mul_f64 v[76:77], v[76:77], v[88:89]
	v_fma_f64 v[86:87], v[50:51], v[86:87], -v[76:77]
	s_waitcnt vmcnt(7)
	v_mul_f64 v[50:51], v[32:33], v[36:37]
	v_fma_f64 v[50:51], v[30:31], v[34:35], -v[50:51]
	v_mul_f64 v[30:31], v[30:31], v[36:37]
	v_fmac_f64_e32 v[30:31], v[32:33], v[34:35]
	s_waitcnt vmcnt(6)
	v_mul_f64 v[34:35], v[50:51], v[40:41]
	v_mul_f64 v[32:33], v[30:31], v[40:41]
	v_fmac_f64_e32 v[34:35], v[38:39], v[30:31]
	v_fma_f64 v[32:33], v[38:39], v[50:51], -v[32:33]
	v_mul_f64 v[30:31], v[74:75], v[34:35]
	v_mul_f64 v[34:35], v[72:73], v[34:35]
	v_fmac_f64_e32 v[30:31], v[72:73], v[32:33]
	v_fma_f64 v[32:33], v[74:75], v[32:33], -v[34:35]
	s_waitcnt vmcnt(4)
	v_mul_f64 v[34:35], v[44:45], v[48:49]
	v_fma_f64 v[34:35], v[42:43], v[46:47], -v[34:35]
	v_mul_f64 v[36:37], v[42:43], v[48:49]
	v_fmac_f64_e32 v[36:37], v[44:45], v[46:47]
	s_waitcnt vmcnt(3)
	v_mul_f64 v[40:41], v[34:35], v[54:55]
	v_mul_f64 v[38:39], v[36:37], v[54:55]
	v_fmac_f64_e32 v[40:41], v[52:53], v[36:37]
	v_fma_f64 v[38:39], v[52:53], v[34:35], -v[38:39]
	v_mul_f64 v[34:35], v[70:71], v[40:41]
	v_mul_f64 v[36:37], v[68:69], v[40:41]
	v_fmac_f64_e32 v[34:35], v[68:69], v[38:39]
	;; [unrolled: 14-line block ×3, first 2 shown]
	v_fma_f64 v[40:41], v[66:67], v[42:43], -v[40:41]
	v_mul_u32_u24_e32 v42, 0x21e, v0
	v_mul_lo_u16_sdwa v42, v42, s0 dst_sel:DWORD dst_unused:UNUSED_PAD src0_sel:WORD_1 src1_sel:DWORD
	v_sub_u16_e32 v42, v0, v42
	v_sub_u32_e32 v0, v0, v42
	v_add_u32_e32 v0, v0, v90
	v_mul_lo_u32 v42, s8, v0
	v_add_lshl_u32 v42, v1, v42, 4
	v_cndmask_b32_e32 v42, -1, v42, vcc
	s_mov_b32 s0, s14
	buffer_store_dwordx4 v[2:5], v42, s[0:3], s4 offen
	v_add_u32_e32 v2, 11, v0
	v_mul_lo_u32 v2, s8, v2
	v_add_lshl_u32 v2, v1, v2, 4
	v_cndmask_b32_e32 v2, -1, v2, vcc
	buffer_store_dwordx4 v[6:9], v2, s[0:3], s4 offen
	v_add_u32_e32 v2, 22, v0
	v_mul_lo_u32 v2, s8, v2
	v_add_lshl_u32 v2, v1, v2, 4
	v_cndmask_b32_e32 v2, -1, v2, vcc
	;; [unrolled: 5-line block ×8, first 2 shown]
	buffer_store_dwordx4 v[30:33], v2, s[0:3], s4 offen
	v_add_u32_e32 v2, 0x63, v0
	v_add_u32_e32 v0, 0x6e, v0
	v_mul_lo_u32 v2, s8, v2
	v_mul_lo_u32 v0, s8, v0
	v_add_lshl_u32 v2, v1, v2, 4
	v_add_lshl_u32 v0, v1, v0, 4
	v_cndmask_b32_e32 v2, -1, v2, vcc
	v_cndmask_b32_e32 v0, -1, v0, vcc
	buffer_store_dwordx4 v[34:37], v2, s[0:3], s4 offen
	buffer_store_dwordx4 v[38:41], v0, s[0:3], s4 offen
	s_endpgm
	.section	.rodata,"a",@progbits
	.p2align	6, 0x0
	.amdhsa_kernel fft_rtc_back_len121_factors_11_11_wgs_121_tpt_11_dp_op_CI_CI_sbcc_twdbase8_3step_dirReg_intrinsicReadWrite
		.amdhsa_group_segment_fixed_size 0
		.amdhsa_private_segment_fixed_size 0
		.amdhsa_kernarg_size 112
		.amdhsa_user_sgpr_count 6
		.amdhsa_user_sgpr_private_segment_buffer 1
		.amdhsa_user_sgpr_dispatch_ptr 0
		.amdhsa_user_sgpr_queue_ptr 0
		.amdhsa_user_sgpr_kernarg_segment_ptr 1
		.amdhsa_user_sgpr_dispatch_id 0
		.amdhsa_user_sgpr_flat_scratch_init 0
		.amdhsa_user_sgpr_kernarg_preload_length 0
		.amdhsa_user_sgpr_kernarg_preload_offset 0
		.amdhsa_user_sgpr_private_segment_size 0
		.amdhsa_uses_dynamic_stack 0
		.amdhsa_system_sgpr_private_segment_wavefront_offset 0
		.amdhsa_system_sgpr_workgroup_id_x 1
		.amdhsa_system_sgpr_workgroup_id_y 0
		.amdhsa_system_sgpr_workgroup_id_z 0
		.amdhsa_system_sgpr_workgroup_info 0
		.amdhsa_system_vgpr_workitem_id 0
		.amdhsa_next_free_vgpr 104
		.amdhsa_next_free_sgpr 53
		.amdhsa_accum_offset 104
		.amdhsa_reserve_vcc 1
		.amdhsa_reserve_flat_scratch 0
		.amdhsa_float_round_mode_32 0
		.amdhsa_float_round_mode_16_64 0
		.amdhsa_float_denorm_mode_32 3
		.amdhsa_float_denorm_mode_16_64 3
		.amdhsa_dx10_clamp 1
		.amdhsa_ieee_mode 1
		.amdhsa_fp16_overflow 0
		.amdhsa_tg_split 0
		.amdhsa_exception_fp_ieee_invalid_op 0
		.amdhsa_exception_fp_denorm_src 0
		.amdhsa_exception_fp_ieee_div_zero 0
		.amdhsa_exception_fp_ieee_overflow 0
		.amdhsa_exception_fp_ieee_underflow 0
		.amdhsa_exception_fp_ieee_inexact 0
		.amdhsa_exception_int_div_zero 0
	.end_amdhsa_kernel
	.text
.Lfunc_end0:
	.size	fft_rtc_back_len121_factors_11_11_wgs_121_tpt_11_dp_op_CI_CI_sbcc_twdbase8_3step_dirReg_intrinsicReadWrite, .Lfunc_end0-fft_rtc_back_len121_factors_11_11_wgs_121_tpt_11_dp_op_CI_CI_sbcc_twdbase8_3step_dirReg_intrinsicReadWrite
                                        ; -- End function
	.section	.AMDGPU.csdata,"",@progbits
; Kernel info:
; codeLenInByte = 9716
; NumSgprs: 57
; NumVgprs: 104
; NumAgprs: 0
; TotalNumVgprs: 104
; ScratchSize: 0
; MemoryBound: 0
; FloatMode: 240
; IeeeMode: 1
; LDSByteSize: 0 bytes/workgroup (compile time only)
; SGPRBlocks: 7
; VGPRBlocks: 12
; NumSGPRsForWavesPerEU: 57
; NumVGPRsForWavesPerEU: 104
; AccumOffset: 104
; Occupancy: 4
; WaveLimiterHint : 0
; COMPUTE_PGM_RSRC2:SCRATCH_EN: 0
; COMPUTE_PGM_RSRC2:USER_SGPR: 6
; COMPUTE_PGM_RSRC2:TRAP_HANDLER: 0
; COMPUTE_PGM_RSRC2:TGID_X_EN: 1
; COMPUTE_PGM_RSRC2:TGID_Y_EN: 0
; COMPUTE_PGM_RSRC2:TGID_Z_EN: 0
; COMPUTE_PGM_RSRC2:TIDIG_COMP_CNT: 0
; COMPUTE_PGM_RSRC3_GFX90A:ACCUM_OFFSET: 25
; COMPUTE_PGM_RSRC3_GFX90A:TG_SPLIT: 0
	.text
	.p2alignl 6, 3212836864
	.fill 256, 4, 3212836864
	.type	__hip_cuid_7f07de3b72cda665,@object ; @__hip_cuid_7f07de3b72cda665
	.section	.bss,"aw",@nobits
	.globl	__hip_cuid_7f07de3b72cda665
__hip_cuid_7f07de3b72cda665:
	.byte	0                               ; 0x0
	.size	__hip_cuid_7f07de3b72cda665, 1

	.ident	"AMD clang version 19.0.0git (https://github.com/RadeonOpenCompute/llvm-project roc-6.4.0 25133 c7fe45cf4b819c5991fe208aaa96edf142730f1d)"
	.section	".note.GNU-stack","",@progbits
	.addrsig
	.addrsig_sym __hip_cuid_7f07de3b72cda665
	.amdgpu_metadata
---
amdhsa.kernels:
  - .agpr_count:     0
    .args:
      - .actual_access:  read_only
        .address_space:  global
        .offset:         0
        .size:           8
        .value_kind:     global_buffer
      - .address_space:  global
        .offset:         8
        .size:           8
        .value_kind:     global_buffer
      - .offset:         16
        .size:           8
        .value_kind:     by_value
      - .actual_access:  read_only
        .address_space:  global
        .offset:         24
        .size:           8
        .value_kind:     global_buffer
      - .actual_access:  read_only
        .address_space:  global
        .offset:         32
        .size:           8
        .value_kind:     global_buffer
      - .actual_access:  read_only
        .address_space:  global
        .offset:         40
        .size:           8
        .value_kind:     global_buffer
      - .offset:         48
        .size:           8
        .value_kind:     by_value
      - .actual_access:  read_only
        .address_space:  global
        .offset:         56
        .size:           8
        .value_kind:     global_buffer
      - .actual_access:  read_only
        .address_space:  global
        .offset:         64
        .size:           8
        .value_kind:     global_buffer
      - .offset:         72
        .size:           4
        .value_kind:     by_value
      - .actual_access:  read_only
        .address_space:  global
        .offset:         80
        .size:           8
        .value_kind:     global_buffer
      - .actual_access:  read_only
        .address_space:  global
        .offset:         88
        .size:           8
        .value_kind:     global_buffer
      - .address_space:  global
        .offset:         96
        .size:           8
        .value_kind:     global_buffer
      - .address_space:  global
        .offset:         104
        .size:           8
        .value_kind:     global_buffer
    .group_segment_fixed_size: 0
    .kernarg_segment_align: 8
    .kernarg_segment_size: 112
    .language:       OpenCL C
    .language_version:
      - 2
      - 0
    .max_flat_workgroup_size: 121
    .name:           fft_rtc_back_len121_factors_11_11_wgs_121_tpt_11_dp_op_CI_CI_sbcc_twdbase8_3step_dirReg_intrinsicReadWrite
    .private_segment_fixed_size: 0
    .sgpr_count:     57
    .sgpr_spill_count: 0
    .symbol:         fft_rtc_back_len121_factors_11_11_wgs_121_tpt_11_dp_op_CI_CI_sbcc_twdbase8_3step_dirReg_intrinsicReadWrite.kd
    .uniform_work_group_size: 1
    .uses_dynamic_stack: false
    .vgpr_count:     104
    .vgpr_spill_count: 0
    .wavefront_size: 64
amdhsa.target:   amdgcn-amd-amdhsa--gfx90a
amdhsa.version:
  - 1
  - 2
...

	.end_amdgpu_metadata
